;; amdgpu-corpus repo=ROCm/rocFFT kind=compiled arch=gfx1030 opt=O3
	.text
	.amdgcn_target "amdgcn-amd-amdhsa--gfx1030"
	.amdhsa_code_object_version 6
	.protected	fft_rtc_fwd_len384_factors_6_4_4_4_wgs_128_tpt_32_halfLds_dp_op_CI_CI_unitstride_sbrr_R2C_dirReg ; -- Begin function fft_rtc_fwd_len384_factors_6_4_4_4_wgs_128_tpt_32_halfLds_dp_op_CI_CI_unitstride_sbrr_R2C_dirReg
	.globl	fft_rtc_fwd_len384_factors_6_4_4_4_wgs_128_tpt_32_halfLds_dp_op_CI_CI_unitstride_sbrr_R2C_dirReg
	.p2align	8
	.type	fft_rtc_fwd_len384_factors_6_4_4_4_wgs_128_tpt_32_halfLds_dp_op_CI_CI_unitstride_sbrr_R2C_dirReg,@function
fft_rtc_fwd_len384_factors_6_4_4_4_wgs_128_tpt_32_halfLds_dp_op_CI_CI_unitstride_sbrr_R2C_dirReg: ; @fft_rtc_fwd_len384_factors_6_4_4_4_wgs_128_tpt_32_halfLds_dp_op_CI_CI_unitstride_sbrr_R2C_dirReg
; %bb.0:
	s_clause 0x2
	s_load_dwordx4 s[12:15], s[4:5], 0x0
	s_load_dwordx4 s[8:11], s[4:5], 0x58
	;; [unrolled: 1-line block ×3, first 2 shown]
	v_lshrrev_b32_e32 v7, 5, v0
	v_mov_b32_e32 v3, 0
	v_mov_b32_e32 v1, 0
	;; [unrolled: 1-line block ×3, first 2 shown]
	v_lshl_or_b32 v5, s6, 2, v7
	v_mov_b32_e32 v6, v3
	s_waitcnt lgkmcnt(0)
	v_cmp_lt_u64_e64 s0, s[14:15], 2
	s_and_b32 vcc_lo, exec_lo, s0
	s_cbranch_vccnz .LBB0_8
; %bb.1:
	s_load_dwordx2 s[0:1], s[4:5], 0x10
	v_mov_b32_e32 v1, 0
	v_mov_b32_e32 v2, 0
	s_add_u32 s2, s18, 8
	s_addc_u32 s3, s19, 0
	s_add_u32 s6, s16, 8
	s_addc_u32 s7, s17, 0
	v_mov_b32_e32 v9, v2
	v_mov_b32_e32 v8, v1
	s_mov_b64 s[22:23], 1
	s_waitcnt lgkmcnt(0)
	s_add_u32 s20, s0, 8
	s_addc_u32 s21, s1, 0
.LBB0_2:                                ; =>This Inner Loop Header: Depth=1
	s_load_dwordx2 s[24:25], s[20:21], 0x0
                                        ; implicit-def: $vgpr12_vgpr13
	s_mov_b32 s0, exec_lo
	s_waitcnt lgkmcnt(0)
	v_or_b32_e32 v4, s25, v6
	v_cmpx_ne_u64_e32 0, v[3:4]
	s_xor_b32 s1, exec_lo, s0
	s_cbranch_execz .LBB0_4
; %bb.3:                                ;   in Loop: Header=BB0_2 Depth=1
	v_cvt_f32_u32_e32 v4, s24
	v_cvt_f32_u32_e32 v10, s25
	s_sub_u32 s0, 0, s24
	s_subb_u32 s26, 0, s25
	v_fmac_f32_e32 v4, 0x4f800000, v10
	v_rcp_f32_e32 v4, v4
	v_mul_f32_e32 v4, 0x5f7ffffc, v4
	v_mul_f32_e32 v10, 0x2f800000, v4
	v_trunc_f32_e32 v10, v10
	v_fmac_f32_e32 v4, 0xcf800000, v10
	v_cvt_u32_f32_e32 v10, v10
	v_cvt_u32_f32_e32 v4, v4
	v_mul_lo_u32 v11, s0, v10
	v_mul_hi_u32 v12, s0, v4
	v_mul_lo_u32 v13, s26, v4
	v_add_nc_u32_e32 v11, v12, v11
	v_mul_lo_u32 v12, s0, v4
	v_add_nc_u32_e32 v11, v11, v13
	v_mul_hi_u32 v13, v4, v12
	v_mul_lo_u32 v14, v4, v11
	v_mul_hi_u32 v15, v4, v11
	v_mul_hi_u32 v16, v10, v12
	v_mul_lo_u32 v12, v10, v12
	v_mul_hi_u32 v17, v10, v11
	v_mul_lo_u32 v11, v10, v11
	v_add_co_u32 v13, vcc_lo, v13, v14
	v_add_co_ci_u32_e32 v14, vcc_lo, 0, v15, vcc_lo
	v_add_co_u32 v12, vcc_lo, v13, v12
	v_add_co_ci_u32_e32 v12, vcc_lo, v14, v16, vcc_lo
	v_add_co_ci_u32_e32 v13, vcc_lo, 0, v17, vcc_lo
	v_add_co_u32 v11, vcc_lo, v12, v11
	v_add_co_ci_u32_e32 v12, vcc_lo, 0, v13, vcc_lo
	v_add_co_u32 v4, vcc_lo, v4, v11
	v_add_co_ci_u32_e32 v10, vcc_lo, v10, v12, vcc_lo
	v_mul_hi_u32 v11, s0, v4
	v_mul_lo_u32 v13, s26, v4
	v_mul_lo_u32 v12, s0, v10
	v_add_nc_u32_e32 v11, v11, v12
	v_mul_lo_u32 v12, s0, v4
	v_add_nc_u32_e32 v11, v11, v13
	v_mul_hi_u32 v13, v4, v12
	v_mul_lo_u32 v14, v4, v11
	v_mul_hi_u32 v15, v4, v11
	v_mul_hi_u32 v16, v10, v12
	v_mul_lo_u32 v12, v10, v12
	v_mul_hi_u32 v17, v10, v11
	v_mul_lo_u32 v11, v10, v11
	v_add_co_u32 v13, vcc_lo, v13, v14
	v_add_co_ci_u32_e32 v14, vcc_lo, 0, v15, vcc_lo
	v_add_co_u32 v12, vcc_lo, v13, v12
	v_add_co_ci_u32_e32 v12, vcc_lo, v14, v16, vcc_lo
	v_add_co_ci_u32_e32 v13, vcc_lo, 0, v17, vcc_lo
	v_add_co_u32 v11, vcc_lo, v12, v11
	v_add_co_ci_u32_e32 v12, vcc_lo, 0, v13, vcc_lo
	v_add_co_u32 v4, vcc_lo, v4, v11
	v_add_co_ci_u32_e32 v14, vcc_lo, v10, v12, vcc_lo
	v_mul_hi_u32 v16, v5, v4
	v_mad_u64_u32 v[12:13], null, v6, v4, 0
	v_mad_u64_u32 v[10:11], null, v5, v14, 0
	;; [unrolled: 1-line block ×3, first 2 shown]
	v_add_co_u32 v4, vcc_lo, v16, v10
	v_add_co_ci_u32_e32 v10, vcc_lo, 0, v11, vcc_lo
	v_add_co_u32 v4, vcc_lo, v4, v12
	v_add_co_ci_u32_e32 v4, vcc_lo, v10, v13, vcc_lo
	v_add_co_ci_u32_e32 v10, vcc_lo, 0, v15, vcc_lo
	v_add_co_u32 v4, vcc_lo, v4, v14
	v_add_co_ci_u32_e32 v12, vcc_lo, 0, v10, vcc_lo
	v_mul_lo_u32 v13, s25, v4
	v_mad_u64_u32 v[10:11], null, s24, v4, 0
	v_mul_lo_u32 v14, s24, v12
	v_sub_co_u32 v10, vcc_lo, v5, v10
	v_add3_u32 v11, v11, v14, v13
	v_sub_nc_u32_e32 v13, v6, v11
	v_subrev_co_ci_u32_e64 v13, s0, s25, v13, vcc_lo
	v_add_co_u32 v14, s0, v4, 2
	v_add_co_ci_u32_e64 v15, s0, 0, v12, s0
	v_sub_co_u32 v16, s0, v10, s24
	v_sub_co_ci_u32_e32 v11, vcc_lo, v6, v11, vcc_lo
	v_subrev_co_ci_u32_e64 v13, s0, 0, v13, s0
	v_cmp_le_u32_e32 vcc_lo, s24, v16
	v_cmp_eq_u32_e64 s0, s25, v11
	v_cndmask_b32_e64 v16, 0, -1, vcc_lo
	v_cmp_le_u32_e32 vcc_lo, s25, v13
	v_cndmask_b32_e64 v17, 0, -1, vcc_lo
	v_cmp_le_u32_e32 vcc_lo, s24, v10
	;; [unrolled: 2-line block ×3, first 2 shown]
	v_cndmask_b32_e64 v18, 0, -1, vcc_lo
	v_cmp_eq_u32_e32 vcc_lo, s25, v13
	v_cndmask_b32_e64 v10, v18, v10, s0
	v_cndmask_b32_e32 v13, v17, v16, vcc_lo
	v_add_co_u32 v16, vcc_lo, v4, 1
	v_add_co_ci_u32_e32 v17, vcc_lo, 0, v12, vcc_lo
	v_cmp_ne_u32_e32 vcc_lo, 0, v13
	v_cndmask_b32_e32 v11, v17, v15, vcc_lo
	v_cndmask_b32_e32 v14, v16, v14, vcc_lo
	v_cmp_ne_u32_e32 vcc_lo, 0, v10
	v_cndmask_b32_e32 v13, v12, v11, vcc_lo
	v_cndmask_b32_e32 v12, v4, v14, vcc_lo
.LBB0_4:                                ;   in Loop: Header=BB0_2 Depth=1
	s_andn2_saveexec_b32 s0, s1
	s_cbranch_execz .LBB0_6
; %bb.5:                                ;   in Loop: Header=BB0_2 Depth=1
	v_cvt_f32_u32_e32 v4, s24
	s_sub_i32 s1, 0, s24
	v_mov_b32_e32 v13, v3
	v_rcp_iflag_f32_e32 v4, v4
	v_mul_f32_e32 v4, 0x4f7ffffe, v4
	v_cvt_u32_f32_e32 v4, v4
	v_mul_lo_u32 v10, s1, v4
	v_mul_hi_u32 v10, v4, v10
	v_add_nc_u32_e32 v4, v4, v10
	v_mul_hi_u32 v4, v5, v4
	v_mul_lo_u32 v10, v4, s24
	v_add_nc_u32_e32 v11, 1, v4
	v_sub_nc_u32_e32 v10, v5, v10
	v_subrev_nc_u32_e32 v12, s24, v10
	v_cmp_le_u32_e32 vcc_lo, s24, v10
	v_cndmask_b32_e32 v10, v10, v12, vcc_lo
	v_cndmask_b32_e32 v4, v4, v11, vcc_lo
	v_cmp_le_u32_e32 vcc_lo, s24, v10
	v_add_nc_u32_e32 v11, 1, v4
	v_cndmask_b32_e32 v12, v4, v11, vcc_lo
.LBB0_6:                                ;   in Loop: Header=BB0_2 Depth=1
	s_or_b32 exec_lo, exec_lo, s0
	v_mul_lo_u32 v4, v13, s24
	v_mul_lo_u32 v14, v12, s25
	s_load_dwordx2 s[0:1], s[6:7], 0x0
	v_mad_u64_u32 v[10:11], null, v12, s24, 0
	s_load_dwordx2 s[24:25], s[2:3], 0x0
	s_add_u32 s22, s22, 1
	s_addc_u32 s23, s23, 0
	s_add_u32 s2, s2, 8
	s_addc_u32 s3, s3, 0
	s_add_u32 s6, s6, 8
	v_add3_u32 v4, v11, v14, v4
	v_sub_co_u32 v5, vcc_lo, v5, v10
	s_addc_u32 s7, s7, 0
	s_add_u32 s20, s20, 8
	v_sub_co_ci_u32_e32 v4, vcc_lo, v6, v4, vcc_lo
	s_addc_u32 s21, s21, 0
	s_waitcnt lgkmcnt(0)
	v_mul_lo_u32 v6, s0, v4
	v_mul_lo_u32 v10, s1, v5
	v_mad_u64_u32 v[1:2], null, s0, v5, v[1:2]
	v_mul_lo_u32 v4, s24, v4
	v_mul_lo_u32 v11, s25, v5
	v_mad_u64_u32 v[8:9], null, s24, v5, v[8:9]
	v_cmp_ge_u64_e64 s0, s[22:23], s[14:15]
	v_add3_u32 v2, v10, v2, v6
	v_add3_u32 v9, v11, v9, v4
	s_and_b32 vcc_lo, exec_lo, s0
	s_cbranch_vccnz .LBB0_9
; %bb.7:                                ;   in Loop: Header=BB0_2 Depth=1
	v_mov_b32_e32 v5, v12
	v_mov_b32_e32 v6, v13
	s_branch .LBB0_2
.LBB0_8:
	v_mov_b32_e32 v9, v2
	v_mov_b32_e32 v13, v6
	;; [unrolled: 1-line block ×4, first 2 shown]
.LBB0_9:
	s_load_dwordx2 s[0:1], s[4:5], 0x28
	s_lshl_b64 s[4:5], s[14:15], 3
	v_and_b32_e32 v10, 31, v0
	s_add_u32 s2, s18, s4
	s_addc_u32 s3, s19, s5
                                        ; implicit-def: $vgpr14
                                        ; implicit-def: $vgpr16
	s_waitcnt lgkmcnt(0)
	v_cmp_gt_u64_e32 vcc_lo, s[0:1], v[12:13]
	v_cmp_le_u64_e64 s0, s[0:1], v[12:13]
	s_and_saveexec_b32 s1, s0
	s_xor_b32 s0, exec_lo, s1
; %bb.10:
	v_and_b32_e32 v10, 31, v0
                                        ; implicit-def: $vgpr1_vgpr2
	v_or_b32_e32 v14, 32, v10
	v_or_b32_e32 v16, 64, v10
; %bb.11:
	s_or_saveexec_b32 s1, s0
	v_mul_u32_u24_e32 v0, 0x181, v7
	v_lshlrev_b32_e32 v4, 4, v0
	s_xor_b32 exec_lo, exec_lo, s1
	s_cbranch_execz .LBB0_13
; %bb.12:
	s_add_u32 s4, s16, s4
	s_addc_u32 s5, s17, s5
	v_lshlrev_b32_e32 v7, 4, v10
	s_load_dwordx2 s[4:5], s[4:5], 0x0
	v_or_b32_e32 v11, 0x800, v7
	v_or_b32_e32 v16, 0xa00, v7
	;; [unrolled: 1-line block ×7, first 2 shown]
	s_waitcnt lgkmcnt(0)
	v_mul_lo_u32 v0, s5, v12
	v_mul_lo_u32 v3, s4, v13
	v_mad_u64_u32 v[5:6], null, s4, v12, 0
	v_add3_u32 v6, v6, v3, v0
	v_lshlrev_b64 v[0:1], 4, v[1:2]
	v_lshlrev_b64 v[2:3], 4, v[5:6]
	v_add_co_u32 v2, s0, s8, v2
	v_add_co_ci_u32_e64 v3, s0, s9, v3, s0
	v_add_co_u32 v40, s0, v2, v0
	v_add_co_ci_u32_e64 v43, s0, v3, v1, s0
	v_add_co_u32 v5, s0, v40, v7
	v_add_co_ci_u32_e64 v6, s0, 0, v43, s0
	v_add_co_u32 v14, s0, v40, v11
	v_add_co_ci_u32_e64 v15, s0, 0, v43, s0
	v_add_co_u32 v33, s0, v40, v16
	v_add_co_ci_u32_e64 v34, s0, 0, v43, s0
	v_add_co_u32 v37, s0, v40, v17
	v_add_co_ci_u32_e64 v38, s0, 0, v43, s0
	v_add_co_u32 v41, s0, v40, v18
	v_add_co_ci_u32_e64 v42, s0, 0, v43, s0
	v_add_co_u32 v45, s0, v40, v19
	v_add_co_ci_u32_e64 v46, s0, 0, v43, s0
	s_clause 0x5
	global_load_dwordx4 v[0:3], v[5:6], off
	global_load_dwordx4 v[17:20], v[5:6], off offset:512
	global_load_dwordx4 v[21:24], v[5:6], off offset:1024
	;; [unrolled: 1-line block ×3, first 2 shown]
	global_load_dwordx4 v[29:32], v[14:15], off
	global_load_dwordx4 v[33:36], v[33:34], off
	v_add_co_u32 v5, s0, v40, v39
	v_or_b32_e32 v11, 0x1600, v7
	v_add_co_ci_u32_e64 v6, s0, 0, v43, s0
	v_add_co_u32 v14, s0, v40, v44
	v_add_co_ci_u32_e64 v15, s0, 0, v43, s0
	v_add_co_u32 v57, s0, v40, v11
	v_add_co_ci_u32_e64 v58, s0, 0, v43, s0
	s_clause 0x5
	global_load_dwordx4 v[37:40], v[37:38], off
	global_load_dwordx4 v[41:44], v[41:42], off
	global_load_dwordx4 v[45:48], v[45:46], off
	global_load_dwordx4 v[49:52], v[5:6], off
	global_load_dwordx4 v[53:56], v[14:15], off
	global_load_dwordx4 v[57:60], v[57:58], off
	v_add3_u32 v5, 0, v4, v7
	v_or_b32_e32 v14, 32, v10
	v_or_b32_e32 v16, 64, v10
	s_waitcnt vmcnt(11)
	ds_write_b128 v5, v[0:3]
	s_waitcnt vmcnt(10)
	ds_write_b128 v5, v[17:20] offset:512
	s_waitcnt vmcnt(9)
	ds_write_b128 v5, v[21:24] offset:1024
	;; [unrolled: 2-line block ×11, first 2 shown]
.LBB0_13:
	s_or_b32 exec_lo, exec_lo, s1
	v_lshlrev_b32_e32 v0, 4, v10
	s_load_dwordx2 s[2:3], s[2:3], 0x0
	s_waitcnt lgkmcnt(0)
	s_barrier
	buffer_gl0_inv
	v_add3_u32 v3, 0, v0, v4
	v_add_nc_u32_e32 v24, 0, v4
	s_mov_b32 s0, 0xe8584caa
	s_mov_b32 s1, 0x3febb67a
	;; [unrolled: 1-line block ×3, first 2 shown]
	ds_read_b128 v[17:20], v3 offset:5120
	ds_read_b128 v[26:29], v3 offset:3072
	;; [unrolled: 1-line block ×4, first 2 shown]
	v_add_nc_u32_e32 v25, v24, v0
	ds_read_b128 v[34:37], v3 offset:2048
	ds_read_b128 v[38:41], v25
	ds_read_b128 v[42:45], v3 offset:1024
	ds_read_b128 v[46:49], v3 offset:4096
	;; [unrolled: 1-line block ×6, first 2 shown]
	s_mov_b32 s4, s0
	v_mul_i32_i24_e32 v11, 6, v14
	s_waitcnt lgkmcnt(0)
	s_barrier
	buffer_gl0_inv
	v_and_b32_e32 v15, 0xff, v16
	v_mul_lo_u16 v15, 0xab, v15
	v_add_f64 v[1:2], v[26:27], v[17:18]
	v_add_f64 v[21:22], v[28:29], v[19:20]
	;; [unrolled: 1-line block ×7, first 2 shown]
	v_add_f64 v[28:29], v[28:29], -v[19:20]
	v_add_f64 v[26:27], v[26:27], -v[17:18]
	v_add_f64 v[72:73], v[40:41], v[36:37]
	v_add_f64 v[78:79], v[50:51], v[4:5]
	v_add_f64 v[4:5], v[4:5], -v[30:31]
	v_fma_f64 v[1:2], v[1:2], -0.5, v[42:43]
	v_fma_f64 v[21:22], v[21:22], -0.5, v[44:45]
	v_add_f64 v[42:43], v[34:35], v[46:47]
	v_fma_f64 v[50:51], v[66:67], -0.5, v[50:51]
	v_fma_f64 v[66:67], v[68:69], -0.5, v[52:53]
	v_add_f64 v[52:53], v[52:53], v[6:7]
	v_add_f64 v[6:7], v[6:7], -v[32:33]
	v_add_f64 v[44:45], v[36:37], -v[48:49]
	v_add_f64 v[36:37], v[36:37], v[48:49]
	v_add_f64 v[34:35], v[34:35], -v[46:47]
	v_add_f64 v[46:47], v[70:71], v[46:47]
	v_add_f64 v[70:71], v[56:57], v[60:61]
	;; [unrolled: 1-line block ×4, first 2 shown]
	v_add_f64 v[17:18], v[60:61], -v[64:65]
	v_add_f64 v[19:20], v[60:61], v[64:65]
	v_add_f64 v[68:69], v[54:55], v[58:59]
	;; [unrolled: 1-line block ×4, first 2 shown]
	v_add_f64 v[58:59], v[58:59], -v[62:63]
	v_fma_f64 v[60:61], v[28:29], s[0:1], v[1:2]
	v_fma_f64 v[1:2], v[28:29], s[4:5], v[1:2]
	;; [unrolled: 1-line block ×4, first 2 shown]
	v_fma_f64 v[38:39], v[42:43], -0.5, v[38:39]
	v_add_f64 v[52:53], v[52:53], v[32:33]
	v_fma_f64 v[26:27], v[6:7], s[0:1], v[50:51]
	v_fma_f64 v[42:43], v[6:7], s[4:5], v[50:51]
	;; [unrolled: 1-line block ×4, first 2 shown]
	v_fma_f64 v[36:37], v[36:37], -0.5, v[40:41]
	v_add_f64 v[64:65], v[70:71], v[64:65]
	v_and_b32_e32 v6, 0xff, v10
	v_fma_f64 v[19:20], v[19:20], -0.5, v[56:57]
	v_add_f64 v[62:63], v[68:69], v[62:63]
	v_add_f64 v[68:69], v[78:79], v[30:31]
	v_fma_f64 v[30:31], v[72:73], -0.5, v[54:55]
	v_mul_lo_u16 v6, 0xab, v6
	v_mul_f64 v[40:41], v[60:61], s[4:5]
	v_mul_f64 v[32:33], v[1:2], -0.5
	v_mul_f64 v[66:67], v[28:29], s[0:1]
	v_mul_f64 v[54:55], v[21:22], -0.5
	v_fma_f64 v[56:57], v[44:45], s[0:1], v[38:39]
	v_fma_f64 v[78:79], v[44:45], s[4:5], v[38:39]
	v_mul_f64 v[72:73], v[26:27], s[4:5]
	v_mul_f64 v[38:39], v[42:43], -0.5
	v_mul_f64 v[70:71], v[50:51], s[0:1]
	v_mul_f64 v[44:45], v[4:5], -0.5
	v_fma_f64 v[80:81], v[34:35], s[4:5], v[36:37]
	v_fma_f64 v[82:83], v[34:35], s[0:1], v[36:37]
	v_lshrrev_b16 v6, 10, v6
	v_add_f64 v[36:37], v[64:65], -v[52:53]
	v_fma_f64 v[88:89], v[58:59], s[4:5], v[19:20]
	v_fma_f64 v[90:91], v[58:59], s[0:1], v[19:20]
	v_add_f64 v[19:20], v[48:49], v[76:77]
	v_fma_f64 v[84:85], v[17:18], s[0:1], v[30:31]
	v_fma_f64 v[86:87], v[17:18], s[4:5], v[30:31]
	v_add_f64 v[17:18], v[46:47], v[74:75]
	v_mul_lo_u16 v7, v6, 6
	v_add_f64 v[30:31], v[62:63], v[68:69]
	v_fma_f64 v[21:22], v[21:22], s[0:1], v[32:33]
	v_fma_f64 v[60:61], v[60:61], 0.5, v[66:67]
	v_fma_f64 v[66:67], v[28:29], 0.5, v[40:41]
	v_fma_f64 v[1:2], v[1:2], s[4:5], v[54:55]
	v_add_f64 v[28:29], v[48:49], -v[76:77]
	v_fma_f64 v[72:73], v[50:51], 0.5, v[72:73]
	v_fma_f64 v[4:5], v[4:5], s[0:1], v[38:39]
	v_fma_f64 v[70:71], v[26:27], 0.5, v[70:71]
	v_fma_f64 v[92:93], v[42:43], s[4:5], v[44:45]
	v_add_f64 v[26:27], v[46:47], -v[74:75]
	v_add_f64 v[32:33], v[64:65], v[52:53]
	v_sub_nc_u16 v7, v10, v7
	v_add_f64 v[34:35], v[62:63], -v[68:69]
	v_cmp_gt_u32_e64 s0, 24, v10
	v_mul_lo_u16 v6, v6, 24
	s_add_u32 s1, s12, 0x17a0
	s_addc_u32 s4, s13, 0
	s_mov_b32 s5, exec_lo
	v_add_f64 v[46:47], v[78:79], v[21:22]
	v_add_f64 v[38:39], v[56:57], v[60:61]
	;; [unrolled: 1-line block ×4, first 2 shown]
	v_add_f64 v[42:43], v[56:57], -v[60:61]
	v_add_f64 v[44:45], v[80:81], -v[66:67]
	;; [unrolled: 1-line block ×4, first 2 shown]
	v_add_f64 v[54:55], v[84:85], v[70:71]
	v_add_f64 v[56:57], v[88:89], v[72:73]
	;; [unrolled: 1-line block ×4, first 2 shown]
	v_add_f64 v[58:59], v[84:85], -v[70:71]
	v_add_f64 v[60:61], v[88:89], -v[72:73]
	;; [unrolled: 1-line block ×4, first 2 shown]
	v_mov_b32_e32 v1, 4
	v_mul_lo_u16 v2, v7, 3
	v_mad_u32_u24 v5, 0x50, v10, v3
	v_lshl_add_u32 v4, v11, 4, v24
	ds_write_b128 v5, v[17:20]
	ds_write_b128 v5, v[26:29] offset:48
	ds_write_b128 v5, v[38:41] offset:16
	;; [unrolled: 1-line block ×5, first 2 shown]
	ds_write_b128 v4, v[30:33]
	ds_write_b128 v4, v[54:57] offset:16
	ds_write_b128 v4, v[62:65] offset:32
	;; [unrolled: 1-line block ×5, first 2 shown]
	v_lshlrev_b32_sdwa v1, v1, v2 dst_sel:DWORD dst_unused:UNUSED_PAD src0_sel:DWORD src1_sel:BYTE_0
	s_waitcnt lgkmcnt(0)
	s_barrier
	buffer_gl0_inv
	v_and_b32_e32 v2, 0xff, v14
	s_clause 0x2
	global_load_dwordx4 v[20:23], v1, s[12:13]
	global_load_dwordx4 v[26:29], v1, s[12:13] offset:16
	global_load_dwordx4 v[30:33], v1, s[12:13] offset:32
	v_mov_b32_e32 v5, 3
	v_mul_lo_u16 v11, 0xab, v2
	v_lshrrev_b16 v84, 10, v15
	v_mad_i32_i24 v4, 0xffffffb0, v14, v4
	v_lshrrev_b16 v15, 12, v15
	v_lshrrev_b16 v18, 10, v11
	v_mul_lo_u16 v17, v84, 6
	v_lshrrev_b16 v11, 12, v11
	v_mul_lo_u16 v2, v18, 6
	v_sub_nc_u16 v85, v16, v17
	v_sub_nc_u16 v19, v14, v2
	v_mul_u32_u24_sdwa v17, v85, v5 dst_sel:DWORD dst_unused:UNUSED_PAD src0_sel:BYTE_0 src1_sel:DWORD
	v_mul_u32_u24_sdwa v1, v19, v5 dst_sel:DWORD dst_unused:UNUSED_PAD src0_sel:BYTE_0 src1_sel:DWORD
	v_lshlrev_b32_e32 v17, 4, v17
	v_lshlrev_b32_e32 v1, 4, v1
	s_clause 0x2
	global_load_dwordx4 v[34:37], v1, s[12:13]
	global_load_dwordx4 v[38:41], v1, s[12:13] offset:16
	global_load_dwordx4 v[42:45], v1, s[12:13] offset:32
	ds_read_b128 v[46:49], v3 offset:1536
	ds_read_b128 v[50:53], v3 offset:3072
	ds_read_b128 v[54:57], v25
	ds_read_b128 v[58:61], v3 offset:4608
	ds_read_b128 v[62:65], v3 offset:3584
	;; [unrolled: 1-line block ×3, first 2 shown]
	s_waitcnt vmcnt(5) lgkmcnt(5)
	v_mul_f64 v[1:2], v[48:49], v[22:23]
	v_mul_f64 v[22:23], v[46:47], v[22:23]
	s_waitcnt vmcnt(4) lgkmcnt(4)
	v_mul_f64 v[70:71], v[52:53], v[28:29]
	v_mul_f64 v[28:29], v[50:51], v[28:29]
	v_fma_f64 v[1:2], v[46:47], v[20:21], -v[1:2]
	v_fma_f64 v[46:47], v[48:49], v[20:21], v[22:23]
	s_waitcnt vmcnt(3) lgkmcnt(2)
	v_mul_f64 v[48:49], v[60:61], v[32:33]
	v_mul_f64 v[32:33], v[58:59], v[32:33]
	v_fma_f64 v[50:51], v[50:51], v[26:27], -v[70:71]
	v_fma_f64 v[52:53], v[52:53], v[26:27], v[28:29]
	ds_read_b128 v[26:29], v3 offset:2560
	ds_read_b128 v[20:23], v3 offset:4096
	s_waitcnt vmcnt(2) lgkmcnt(2)
	v_mul_f64 v[70:71], v[68:69], v[36:37]
	v_mul_f64 v[36:37], v[66:67], v[36:37]
	v_fma_f64 v[48:49], v[58:59], v[30:31], -v[48:49]
	v_fma_f64 v[58:59], v[60:61], v[30:31], v[32:33]
	ds_read_b128 v[30:33], v3 offset:5120
	s_waitcnt vmcnt(1)
	v_mul_f64 v[60:61], v[64:65], v[40:41]
	v_mul_f64 v[40:41], v[62:63], v[40:41]
	v_add_f64 v[50:51], v[54:55], -v[50:51]
	v_add_f64 v[52:53], v[56:57], -v[52:53]
	v_fma_f64 v[66:67], v[66:67], v[34:35], -v[70:71]
	v_fma_f64 v[68:69], v[68:69], v[34:35], v[36:37]
	ds_read_b128 v[34:37], v3 offset:5632
	s_waitcnt vmcnt(0) lgkmcnt(1)
	v_mul_f64 v[70:71], v[32:33], v[44:45]
	v_mul_f64 v[44:45], v[30:31], v[44:45]
	v_fma_f64 v[60:61], v[62:63], v[38:39], -v[60:61]
	v_fma_f64 v[62:63], v[64:65], v[38:39], v[40:41]
	global_load_dwordx4 v[38:41], v17, s[12:13]
	v_fma_f64 v[54:55], v[54:55], 2.0, -v[50:51]
	v_fma_f64 v[64:65], v[30:31], v[42:43], -v[70:71]
	v_fma_f64 v[70:71], v[32:33], v[42:43], v[44:45]
	s_clause 0x1
	global_load_dwordx4 v[30:33], v17, s[12:13] offset:16
	global_load_dwordx4 v[42:45], v17, s[12:13] offset:32
	v_subrev_nc_u32_e32 v17, 24, v10
	v_cndmask_b32_e64 v17, v17, v10, s0
	s_waitcnt vmcnt(2)
	v_mul_f64 v[72:73], v[28:29], v[40:41]
	v_mul_f64 v[40:41], v[26:27], v[40:41]
	v_fma_f64 v[72:73], v[26:27], v[38:39], -v[72:73]
	s_waitcnt vmcnt(1)
	v_mul_f64 v[26:27], v[22:23], v[32:33]
	v_fma_f64 v[38:39], v[28:29], v[38:39], v[40:41]
	v_mul_f64 v[28:29], v[20:21], v[32:33]
	s_waitcnt vmcnt(0) lgkmcnt(0)
	v_mul_f64 v[32:33], v[36:37], v[44:45]
	v_mul_f64 v[40:41], v[34:35], v[44:45]
	v_fma_f64 v[44:45], v[20:21], v[30:31], -v[26:27]
	v_lshl_add_u32 v26, v16, 4, v24
	v_fma_f64 v[74:75], v[22:23], v[30:31], v[28:29]
	ds_read_b128 v[20:23], v4
	v_fma_f64 v[31:32], v[34:35], v[42:43], -v[32:33]
	v_fma_f64 v[33:34], v[36:37], v[42:43], v[40:41]
	ds_read_b128 v[27:30], v26
	v_add_f64 v[35:36], v[1:2], -v[48:49]
	v_add_f64 v[40:41], v[46:47], -v[58:59]
	v_add_f64 v[42:43], v[66:67], -v[64:65]
	v_add_f64 v[48:49], v[68:69], -v[70:71]
	v_fma_f64 v[70:71], v[56:57], 2.0, -v[52:53]
	s_waitcnt lgkmcnt(0)
	s_barrier
	buffer_gl0_inv
	v_add_f64 v[58:59], v[20:21], -v[60:61]
	v_add_f64 v[76:77], v[22:23], -v[62:63]
	v_mov_b32_e32 v62, 24
	v_add_f64 v[63:64], v[27:28], -v[44:45]
	v_add_f64 v[74:75], v[29:30], -v[74:75]
	;; [unrolled: 1-line block ×4, first 2 shown]
	v_fma_f64 v[1:2], v[1:2], 2.0, -v[35:36]
	v_fma_f64 v[33:34], v[46:47], 2.0, -v[40:41]
	;; [unrolled: 1-line block ×4, first 2 shown]
	v_mul_u32_u24_sdwa v18, v18, v62 dst_sel:DWORD dst_unused:UNUSED_PAD src0_sel:WORD_0 src1_sel:DWORD
	v_mul_u32_u24_sdwa v84, v84, v62 dst_sel:DWORD dst_unused:UNUSED_PAD src0_sel:WORD_0 src1_sel:DWORD
	v_or_b32_sdwa v18, v18, v19 dst_sel:DWORD dst_unused:UNUSED_PAD src0_sel:DWORD src1_sel:BYTE_0
	v_or_b32_sdwa v19, v84, v85 dst_sel:DWORD dst_unused:UNUSED_PAD src0_sel:DWORD src1_sel:BYTE_0
	v_lshl_add_u32 v18, v18, 4, v24
	v_fma_f64 v[78:79], v[20:21], 2.0, -v[58:59]
	v_fma_f64 v[80:81], v[22:23], 2.0, -v[76:77]
	v_add_f64 v[20:21], v[50:51], -v[40:41]
	v_fma_f64 v[65:66], v[27:28], 2.0, -v[63:64]
	v_fma_f64 v[82:83], v[29:30], 2.0, -v[74:75]
	;; [unrolled: 1-line block ×4, first 2 shown]
	v_add_f64 v[22:23], v[52:53], v[35:36]
	v_add_f64 v[27:28], v[58:59], -v[48:49]
	v_add_f64 v[31:32], v[54:55], -v[1:2]
	;; [unrolled: 1-line block ×3, first 2 shown]
	v_add_f64 v[29:30], v[76:77], v[42:43]
	v_add_f64 v[39:40], v[63:64], -v[44:45]
	v_add_f64 v[41:42], v[74:75], v[60:61]
	v_mov_b32_e32 v2, 0
	v_mul_i32_i24_e32 v1, 3, v17
	v_lshl_add_u32 v19, v19, 4, v24
	v_add_f64 v[35:36], v[78:79], -v[46:47]
	v_add_f64 v[37:38], v[80:81], -v[56:57]
	v_fma_f64 v[47:48], v[50:51], 2.0, -v[20:21]
	v_add_f64 v[43:44], v[65:66], -v[67:68]
	v_add_f64 v[45:46], v[82:83], -v[72:73]
	v_fma_f64 v[49:50], v[52:53], 2.0, -v[22:23]
	v_fma_f64 v[51:52], v[58:59], 2.0, -v[27:28]
	;; [unrolled: 1-line block ×5, first 2 shown]
	v_lshlrev_b64 v[72:73], 4, v[1:2]
	v_or_b32_e32 v1, v6, v7
	v_fma_f64 v[63:64], v[63:64], 2.0, -v[39:40]
	v_and_b32_e32 v1, 0xff, v1
	v_add_co_u32 v6, s0, s12, v72
	v_add_co_ci_u32_e64 v7, s0, s13, v73, s0
	v_fma_f64 v[59:60], v[78:79], 2.0, -v[35:36]
	v_fma_f64 v[61:62], v[80:81], 2.0, -v[37:38]
	v_lshl_add_u32 v1, v1, 4, v24
	v_cmp_lt_u32_e64 s0, 23, v10
	v_fma_f64 v[67:68], v[65:66], 2.0, -v[43:44]
	v_fma_f64 v[69:70], v[82:83], 2.0, -v[45:46]
	;; [unrolled: 1-line block ×3, first 2 shown]
	ds_write_b128 v1, v[20:23] offset:288
	ds_write_b128 v1, v[47:50] offset:96
	;; [unrolled: 1-line block ×3, first 2 shown]
	ds_write_b128 v1, v[55:58]
	ds_write_b128 v18, v[59:62]
	ds_write_b128 v18, v[51:54] offset:96
	ds_write_b128 v18, v[35:38] offset:192
	;; [unrolled: 1-line block ×3, first 2 shown]
	ds_write_b128 v19, v[67:70]
	ds_write_b128 v19, v[63:66] offset:96
	ds_write_b128 v19, v[43:46] offset:192
	;; [unrolled: 1-line block ×3, first 2 shown]
	s_waitcnt lgkmcnt(0)
	s_barrier
	buffer_gl0_inv
	s_clause 0x2
	global_load_dwordx4 v[18:21], v[6:7], off offset:288
	global_load_dwordx4 v[27:30], v[6:7], off offset:304
	;; [unrolled: 1-line block ×3, first 2 shown]
	v_mul_lo_u16 v1, v11, 24
	v_mul_lo_u16 v75, v15, 24
	v_sub_nc_u16 v1, v14, v1
	v_sub_nc_u16 v77, v16, v75
	v_mul_u32_u24_sdwa v6, v1, v5 dst_sel:DWORD dst_unused:UNUSED_PAD src0_sel:BYTE_0 src1_sel:DWORD
	v_mul_u32_u24_sdwa v5, v77, v5 dst_sel:DWORD dst_unused:UNUSED_PAD src0_sel:BYTE_0 src1_sel:DWORD
	v_lshlrev_b32_e32 v6, 4, v6
	s_clause 0x2
	global_load_dwordx4 v[35:38], v6, s[12:13] offset:288
	global_load_dwordx4 v[39:42], v6, s[12:13] offset:304
	;; [unrolled: 1-line block ×3, first 2 shown]
	ds_read_b128 v[47:50], v3 offset:1536
	ds_read_b128 v[51:54], v3 offset:3072
	ds_read_b128 v[55:58], v25
	v_lshlrev_b32_e32 v5, 4, v5
	s_waitcnt vmcnt(5) lgkmcnt(2)
	v_mul_f64 v[6:7], v[49:50], v[20:21]
	v_mul_f64 v[67:68], v[47:48], v[20:21]
	ds_read_b128 v[20:23], v3 offset:4608
	ds_read_b128 v[59:62], v3 offset:3584
	s_waitcnt vmcnt(4) lgkmcnt(3)
	v_mul_f64 v[69:70], v[53:54], v[29:30]
	v_mul_f64 v[29:30], v[51:52], v[29:30]
	ds_read_b128 v[63:66], v3 offset:2048
	v_fma_f64 v[6:7], v[47:48], v[18:19], -v[6:7]
	v_fma_f64 v[67:68], v[49:50], v[18:19], v[67:68]
	s_waitcnt vmcnt(3) lgkmcnt(2)
	v_mul_f64 v[18:19], v[22:23], v[33:34]
	v_mul_f64 v[33:34], v[20:21], v[33:34]
	ds_read_b128 v[47:50], v3 offset:4096
	v_fma_f64 v[51:52], v[51:52], v[27:28], -v[69:70]
	v_fma_f64 v[53:54], v[53:54], v[27:28], v[29:30]
	ds_read_b128 v[27:30], v3 offset:2560
	s_waitcnt vmcnt(2) lgkmcnt(2)
	v_mul_f64 v[69:70], v[65:66], v[37:38]
	v_mul_f64 v[37:38], v[63:64], v[37:38]
	v_fma_f64 v[71:72], v[20:21], v[31:32], -v[18:19]
	ds_read_b128 v[18:21], v3 offset:5120
	v_fma_f64 v[73:74], v[22:23], v[31:32], v[33:34]
	s_waitcnt vmcnt(1)
	v_mul_f64 v[22:23], v[61:62], v[41:42]
	v_mul_f64 v[41:42], v[59:60], v[41:42]
	global_load_dwordx4 v[31:34], v5, s[12:13] offset:288
	v_fma_f64 v[63:64], v[63:64], v[35:36], -v[69:70]
	v_fma_f64 v[65:66], v[65:66], v[35:36], v[37:38]
	ds_read_b128 v[35:38], v3 offset:5632
	v_fma_f64 v[59:60], v[59:60], v[39:40], -v[22:23]
	s_waitcnt vmcnt(1) lgkmcnt(1)
	v_mul_f64 v[22:23], v[20:21], v[45:46]
	v_mul_f64 v[45:46], v[18:19], v[45:46]
	v_fma_f64 v[61:62], v[61:62], v[39:40], v[41:42]
	global_load_dwordx4 v[39:42], v5, s[12:13] offset:304
	v_fma_f64 v[69:70], v[18:19], v[43:44], -v[22:23]
	v_fma_f64 v[43:44], v[20:21], v[43:44], v[45:46]
	global_load_dwordx4 v[18:21], v5, s[12:13] offset:320
	v_add_f64 v[43:44], v[65:66], -v[43:44]
	s_waitcnt vmcnt(2)
	v_mul_f64 v[22:23], v[29:30], v[33:34]
	v_mul_f64 v[33:34], v[27:28], v[33:34]
	v_fma_f64 v[45:46], v[27:28], v[31:32], -v[22:23]
	v_fma_f64 v[31:32], v[29:30], v[31:32], v[33:34]
	s_waitcnt vmcnt(1)
	v_mul_f64 v[22:23], v[49:50], v[41:42]
	v_mul_f64 v[27:28], v[47:48], v[41:42]
	s_waitcnt vmcnt(0) lgkmcnt(0)
	v_mul_f64 v[33:34], v[37:38], v[20:21]
	v_mul_f64 v[41:42], v[35:36], v[20:21]
	v_fma_f64 v[47:48], v[47:48], v[39:40], -v[22:23]
	v_fma_f64 v[39:40], v[49:50], v[39:40], v[27:28]
	ds_read_b128 v[20:23], v4
	ds_read_b128 v[27:30], v26
	v_add_f64 v[49:50], v[55:56], -v[51:52]
	v_add_f64 v[51:52], v[57:58], -v[53:54]
	s_waitcnt lgkmcnt(0)
	s_barrier
	buffer_gl0_inv
	v_fma_f64 v[33:34], v[35:36], v[18:19], -v[33:34]
	v_fma_f64 v[18:19], v[37:38], v[18:19], v[41:42]
	v_add_f64 v[35:36], v[6:7], -v[71:72]
	v_add_f64 v[37:38], v[67:68], -v[73:74]
	v_add_f64 v[53:54], v[20:21], -v[59:60]
	v_add_f64 v[71:72], v[22:23], -v[61:62]
	v_add_f64 v[41:42], v[63:64], -v[69:70]
	v_add_f64 v[69:70], v[27:28], -v[47:48]
	v_add_f64 v[73:74], v[29:30], -v[39:40]
	v_fma_f64 v[55:56], v[55:56], 2.0, -v[49:50]
	v_fma_f64 v[57:58], v[57:58], 2.0, -v[51:52]
	v_add_f64 v[47:48], v[45:46], -v[33:34]
	v_add_f64 v[39:40], v[31:32], -v[18:19]
	v_fma_f64 v[5:6], v[6:7], 2.0, -v[35:36]
	v_fma_f64 v[33:34], v[67:68], 2.0, -v[37:38]
	v_fma_f64 v[59:60], v[20:21], 2.0, -v[53:54]
	v_fma_f64 v[22:23], v[22:23], 2.0, -v[71:72]
	v_fma_f64 v[61:62], v[63:64], 2.0, -v[41:42]
	v_fma_f64 v[63:64], v[65:66], 2.0, -v[43:44]
	v_fma_f64 v[65:66], v[27:28], 2.0, -v[69:70]
	v_fma_f64 v[75:76], v[29:30], 2.0, -v[73:74]
	v_add_f64 v[18:19], v[49:50], -v[37:38]
	v_add_f64 v[20:21], v[51:52], v[35:36]
	v_add_f64 v[27:28], v[53:54], -v[43:44]
	v_add_f64 v[29:30], v[71:72], v[41:42]
	v_fma_f64 v[45:46], v[45:46], 2.0, -v[47:48]
	v_fma_f64 v[67:68], v[31:32], 2.0, -v[39:40]
	v_add_f64 v[31:32], v[55:56], -v[5:6]
	v_add_f64 v[33:34], v[57:58], -v[33:34]
	;; [unrolled: 1-line block ×3, first 2 shown]
	v_add_f64 v[41:42], v[73:74], v[47:48]
	v_add_f64 v[35:36], v[59:60], -v[61:62]
	v_add_f64 v[37:38], v[22:23], -v[63:64]
	v_mov_b32_e32 v5, 0x60
	v_cndmask_b32_e64 v6, 0, 0x60, s0
	v_fma_f64 v[47:48], v[49:50], 2.0, -v[18:19]
	v_fma_f64 v[49:50], v[51:52], 2.0, -v[20:21]
	;; [unrolled: 1-line block ×4, first 2 shown]
	v_mul_u32_u24_sdwa v7, v11, v5 dst_sel:DWORD dst_unused:UNUSED_PAD src0_sel:WORD_0 src1_sel:DWORD
	v_mul_u32_u24_sdwa v5, v15, v5 dst_sel:DWORD dst_unused:UNUSED_PAD src0_sel:WORD_0 src1_sel:DWORD
	v_mul_u32_u24_e32 v11, 3, v10
	v_or_b32_e32 v6, v6, v17
	v_or_b32_sdwa v1, v7, v1 dst_sel:DWORD dst_unused:UNUSED_PAD src0_sel:DWORD src1_sel:BYTE_0
	v_or_b32_sdwa v5, v5, v77 dst_sel:DWORD dst_unused:UNUSED_PAD src0_sel:DWORD src1_sel:BYTE_0
	v_lshlrev_b32_e32 v7, 4, v11
	v_add_f64 v[43:44], v[65:66], -v[45:46]
	v_add_f64 v[45:46], v[75:76], -v[67:68]
	v_fma_f64 v[55:56], v[55:56], 2.0, -v[31:32]
	v_fma_f64 v[57:58], v[57:58], 2.0, -v[33:34]
	;; [unrolled: 1-line block ×3, first 2 shown]
	v_lshl_add_u32 v6, v6, 4, v24
	v_fma_f64 v[59:60], v[59:60], 2.0, -v[35:36]
	v_fma_f64 v[61:62], v[22:23], 2.0, -v[37:38]
	v_lshl_add_u32 v1, v1, 4, v24
	v_lshl_add_u32 v5, v5, 4, v24
	v_fma_f64 v[67:68], v[65:66], 2.0, -v[43:44]
	v_fma_f64 v[69:70], v[75:76], 2.0, -v[45:46]
	;; [unrolled: 1-line block ×3, first 2 shown]
	ds_write_b128 v6, v[18:21] offset:1152
	ds_write_b128 v6, v[47:50] offset:384
	;; [unrolled: 1-line block ×3, first 2 shown]
	ds_write_b128 v6, v[55:58]
	ds_write_b128 v1, v[59:62]
	ds_write_b128 v1, v[51:54] offset:384
	ds_write_b128 v1, v[35:38] offset:768
	;; [unrolled: 1-line block ×3, first 2 shown]
	ds_write_b128 v5, v[67:70]
	ds_write_b128 v5, v[63:66] offset:384
	ds_write_b128 v5, v[43:46] offset:768
	;; [unrolled: 1-line block ×3, first 2 shown]
	s_waitcnt lgkmcnt(0)
	s_barrier
	buffer_gl0_inv
	s_clause 0x2
	global_load_dwordx4 v[17:20], v7, s[12:13] offset:1440
	global_load_dwordx4 v[27:30], v7, s[12:13] offset:1456
	;; [unrolled: 1-line block ×3, first 2 shown]
	v_mul_i32_i24_e32 v1, 3, v14
	v_lshlrev_b64 v[5:6], 4, v[1:2]
	v_mul_i32_i24_e32 v1, 3, v16
	v_add_co_u32 v5, s0, s12, v5
	v_add_co_ci_u32_e64 v6, s0, s13, v6, s0
	s_clause 0x2
	global_load_dwordx4 v[35:38], v[5:6], off offset:1440
	global_load_dwordx4 v[39:42], v[5:6], off offset:1456
	;; [unrolled: 1-line block ×3, first 2 shown]
	v_lshlrev_b64 v[5:6], 4, v[1:2]
	v_add_co_u32 v5, s0, s12, v5
	v_add_co_ci_u32_e64 v6, s0, s13, v6, s0
	s_clause 0x2
	global_load_dwordx4 v[47:50], v[5:6], off offset:1440
	global_load_dwordx4 v[51:54], v[5:6], off offset:1456
	;; [unrolled: 1-line block ×3, first 2 shown]
	ds_read_b128 v[59:62], v3 offset:1536
	ds_read_b128 v[63:66], v25
	ds_read_b128 v[67:70], v3 offset:3072
	s_waitcnt vmcnt(8) lgkmcnt(2)
	v_mul_f64 v[5:6], v[61:62], v[19:20]
	v_mul_f64 v[71:72], v[59:60], v[19:20]
	ds_read_b128 v[19:22], v3 offset:3584
	s_waitcnt vmcnt(7) lgkmcnt(1)
	v_mul_f64 v[75:76], v[69:70], v[29:30]
	v_mul_f64 v[29:30], v[67:68], v[29:30]
	v_fma_f64 v[5:6], v[59:60], v[17:18], -v[5:6]
	v_fma_f64 v[77:78], v[61:62], v[17:18], v[71:72]
	ds_read_b128 v[59:62], v3 offset:4608
	ds_read_b128 v[71:74], v3 offset:4096
	v_fma_f64 v[67:68], v[67:68], v[27:28], -v[75:76]
	v_fma_f64 v[69:70], v[69:70], v[27:28], v[29:30]
	ds_read_b128 v[27:30], v3 offset:2048
	s_waitcnt vmcnt(4) lgkmcnt(3)
	v_mul_f64 v[75:76], v[21:22], v[41:42]
	s_waitcnt lgkmcnt(2)
	v_mul_f64 v[17:18], v[61:62], v[33:34]
	v_mul_f64 v[33:34], v[59:60], v[33:34]
	v_fma_f64 v[59:60], v[59:60], v[31:32], -v[17:18]
	v_fma_f64 v[61:62], v[61:62], v[31:32], v[33:34]
	ds_read_b128 v[31:34], v3 offset:2560
	s_waitcnt lgkmcnt(1)
	v_mul_f64 v[17:18], v[29:30], v[37:38]
	v_mul_f64 v[37:38], v[27:28], v[37:38]
	v_fma_f64 v[79:80], v[27:28], v[35:36], -v[17:18]
	v_mul_f64 v[17:18], v[19:20], v[41:42]
	v_fma_f64 v[35:36], v[29:30], v[35:36], v[37:38]
	ds_read_b128 v[27:30], v3 offset:5120
	v_fma_f64 v[37:38], v[19:20], v[39:40], -v[75:76]
	v_fma_f64 v[21:22], v[21:22], v[39:40], v[17:18]
	ds_read_b128 v[17:20], v3 offset:5632
	s_waitcnt vmcnt(3) lgkmcnt(1)
	v_mul_f64 v[39:40], v[29:30], v[45:46]
	v_mul_f64 v[41:42], v[27:28], v[45:46]
	s_waitcnt vmcnt(2)
	v_mul_f64 v[45:46], v[33:34], v[49:50]
	v_fma_f64 v[39:40], v[27:28], v[43:44], -v[39:40]
	v_mul_f64 v[27:28], v[31:32], v[49:50]
	v_fma_f64 v[41:42], v[29:30], v[43:44], v[41:42]
	s_waitcnt vmcnt(1)
	v_mul_f64 v[43:44], v[73:74], v[53:54]
	v_mul_f64 v[49:50], v[71:72], v[53:54]
	s_waitcnt vmcnt(0) lgkmcnt(0)
	v_mul_f64 v[53:54], v[19:20], v[57:58]
	v_mul_f64 v[57:58], v[17:18], v[57:58]
	v_fma_f64 v[45:46], v[31:32], v[47:48], -v[45:46]
	v_add_f64 v[39:40], v[79:80], -v[39:40]
	v_fma_f64 v[47:48], v[33:34], v[47:48], v[27:28]
	ds_read_b128 v[27:30], v4
	ds_read_b128 v[31:34], v26
	v_fma_f64 v[43:44], v[71:72], v[51:52], -v[43:44]
	v_fma_f64 v[49:50], v[73:74], v[51:52], v[49:50]
	v_fma_f64 v[17:18], v[17:18], v[55:56], -v[53:54]
	v_fma_f64 v[19:20], v[19:20], v[55:56], v[57:58]
	v_add_f64 v[51:52], v[63:64], -v[67:68]
	v_add_f64 v[53:54], v[65:66], -v[69:70]
	v_add_f64 v[55:56], v[5:6], -v[59:60]
	v_add_f64 v[57:58], v[77:78], -v[61:62]
	s_waitcnt lgkmcnt(0)
	s_barrier
	buffer_gl0_inv
	v_add_f64 v[59:60], v[27:28], -v[37:38]
	v_add_f64 v[21:22], v[29:30], -v[21:22]
	;; [unrolled: 1-line block ×7, first 2 shown]
	v_fma_f64 v[61:62], v[63:64], 2.0, -v[51:52]
	v_fma_f64 v[63:64], v[65:66], 2.0, -v[53:54]
	;; [unrolled: 1-line block ×4, first 2 shown]
	v_add_f64 v[17:18], v[51:52], -v[57:58]
	v_add_f64 v[19:20], v[53:54], v[55:56]
	v_fma_f64 v[65:66], v[27:28], 2.0, -v[59:60]
	v_fma_f64 v[69:70], v[29:30], 2.0, -v[21:22]
	;; [unrolled: 1-line block ×8, first 2 shown]
	v_add_f64 v[27:28], v[59:60], -v[37:38]
	v_add_f64 v[41:42], v[71:72], v[41:42]
	v_add_f64 v[31:32], v[61:62], -v[5:6]
	v_add_f64 v[33:34], v[63:64], -v[49:50]
	v_fma_f64 v[49:50], v[53:54], 2.0, -v[19:20]
	v_add_f64 v[35:36], v[65:66], -v[29:30]
	v_add_f64 v[37:38], v[69:70], -v[73:74]
	v_add_f64 v[29:30], v[21:22], v[39:40]
	v_add_f64 v[39:40], v[67:68], -v[43:44]
	v_add_f64 v[43:44], v[75:76], -v[45:46]
	;; [unrolled: 1-line block ×3, first 2 shown]
	v_fma_f64 v[47:48], v[51:52], 2.0, -v[17:18]
	v_fma_f64 v[51:52], v[59:60], 2.0, -v[27:28]
	v_fma_f64 v[55:56], v[61:62], 2.0, -v[31:32]
	v_fma_f64 v[57:58], v[63:64], 2.0, -v[33:34]
	v_fma_f64 v[59:60], v[65:66], 2.0, -v[35:36]
	v_fma_f64 v[61:62], v[69:70], 2.0, -v[37:38]
	v_fma_f64 v[53:54], v[21:22], 2.0, -v[29:30]
	v_fma_f64 v[63:64], v[67:68], 2.0, -v[39:40]
	v_fma_f64 v[67:68], v[75:76], 2.0, -v[43:44]
	v_fma_f64 v[69:70], v[77:78], 2.0, -v[45:46]
	v_fma_f64 v[65:66], v[71:72], 2.0, -v[41:42]
	ds_write_b128 v3, v[17:20] offset:4608
	ds_write_b128 v3, v[47:50] offset:1536
	;; [unrolled: 1-line block ×3, first 2 shown]
	ds_write_b128 v3, v[55:58]
	ds_write_b128 v4, v[59:62]
	ds_write_b128 v4, v[51:54] offset:1536
	ds_write_b128 v4, v[35:38] offset:3072
	;; [unrolled: 1-line block ×3, first 2 shown]
	ds_write_b128 v26, v[67:70]
	ds_write_b128 v26, v[63:66] offset:1536
	ds_write_b128 v26, v[43:46] offset:3072
	;; [unrolled: 1-line block ×3, first 2 shown]
	s_waitcnt lgkmcnt(0)
	s_barrier
	buffer_gl0_inv
	ds_read_b128 v[4:7], v25
	v_sub_nc_u32_e32 v27, v24, v0
                                        ; implicit-def: $vgpr0_vgpr1
                                        ; implicit-def: $vgpr20_vgpr21
                                        ; implicit-def: $vgpr22_vgpr23
                                        ; implicit-def: $vgpr18_vgpr19
	v_cmpx_ne_u32_e32 0, v10
	s_xor_b32 s5, exec_lo, s5
	s_cbranch_execz .LBB0_15
; %bb.14:
	v_mov_b32_e32 v11, v2
	v_lshlrev_b64 v[0:1], 4, v[10:11]
	v_add_co_u32 v0, s0, s1, v0
	v_add_co_ci_u32_e64 v1, s0, s4, v1, s0
	global_load_dwordx4 v[17:20], v[0:1], off
	ds_read_b128 v[0:3], v27 offset:6144
	s_waitcnt lgkmcnt(0)
	v_add_f64 v[21:22], v[4:5], -v[0:1]
	v_add_f64 v[28:29], v[6:7], v[2:3]
	v_add_f64 v[2:3], v[6:7], -v[2:3]
	v_add_f64 v[0:1], v[4:5], v[0:1]
	v_mul_f64 v[6:7], v[21:22], 0.5
	v_mul_f64 v[4:5], v[28:29], 0.5
	;; [unrolled: 1-line block ×3, first 2 shown]
	s_waitcnt vmcnt(0)
	v_mul_f64 v[21:22], v[6:7], v[19:20]
	v_fma_f64 v[28:29], v[4:5], v[19:20], v[2:3]
	v_fma_f64 v[2:3], v[4:5], v[19:20], -v[2:3]
	v_fma_f64 v[30:31], v[0:1], 0.5, v[21:22]
	v_fma_f64 v[0:1], v[0:1], 0.5, -v[21:22]
	v_fma_f64 v[22:23], -v[17:18], v[6:7], v[28:29]
	v_fma_f64 v[2:3], -v[17:18], v[6:7], v[2:3]
	v_fma_f64 v[20:21], v[4:5], v[17:18], v[30:31]
	v_fma_f64 v[0:1], -v[4:5], v[17:18], v[0:1]
	v_mov_b32_e32 v19, v11
	v_mov_b32_e32 v18, v10
                                        ; implicit-def: $vgpr4_vgpr5
.LBB0_15:
	s_andn2_saveexec_b32 s0, s5
	s_cbranch_execz .LBB0_17
; %bb.16:
	ds_read_b64 v[28:29], v24 offset:3080
	s_waitcnt lgkmcnt(1)
	v_add_f64 v[20:21], v[4:5], v[6:7]
	v_add_f64 v[0:1], v[4:5], -v[6:7]
	v_mov_b32_e32 v22, 0
	v_mov_b32_e32 v23, 0
	;; [unrolled: 1-line block ×6, first 2 shown]
	s_waitcnt lgkmcnt(0)
	v_xor_b32_e32 v29, 0x80000000, v29
	ds_write_b64 v24, v[28:29] offset:3080
.LBB0_17:
	s_or_b32 exec_lo, exec_lo, s0
	v_mov_b32_e32 v15, 0
	ds_write2_b64 v25, v[20:21], v[22:23] offset1:1
	v_lshlrev_b64 v[20:21], 4, v[18:19]
	v_lshl_add_u32 v11, v14, 4, v24
	ds_write_b128 v27, v[0:3] offset:6144
	s_waitcnt lgkmcnt(2)
	v_lshlrev_b64 v[4:5], 4, v[14:15]
	v_mov_b32_e32 v17, v15
	v_or_b32_e32 v14, 0x80, v10
	v_lshlrev_b64 v[16:17], 4, v[16:17]
	v_add_co_u32 v4, s0, s1, v4
	v_add_co_ci_u32_e64 v5, s0, s4, v5, s0
	v_add_co_u32 v16, s0, s1, v16
	global_load_dwordx4 v[4:7], v[4:5], off
	v_add_co_ci_u32_e64 v17, s0, s4, v17, s0
	v_add_co_u32 v20, s0, s1, v20
	v_add_co_ci_u32_e64 v21, s0, s4, v21, s0
	global_load_dwordx4 v[28:31], v[16:17], off
	ds_read_b128 v[0:3], v11
	ds_read_b128 v[16:19], v27 offset:5632
	global_load_dwordx4 v[20:23], v[20:21], off offset:1536
	s_waitcnt lgkmcnt(0)
	v_add_f64 v[32:33], v[0:1], -v[16:17]
	v_add_f64 v[34:35], v[2:3], v[18:19]
	v_add_f64 v[2:3], v[2:3], -v[18:19]
	v_add_f64 v[0:1], v[0:1], v[16:17]
	v_mul_f64 v[18:19], v[32:33], 0.5
	v_mul_f64 v[32:33], v[34:35], 0.5
	;; [unrolled: 1-line block ×3, first 2 shown]
	s_waitcnt vmcnt(2)
	v_mul_f64 v[16:17], v[18:19], v[6:7]
	v_fma_f64 v[34:35], v[32:33], v[6:7], v[2:3]
	v_fma_f64 v[2:3], v[32:33], v[6:7], -v[2:3]
	v_fma_f64 v[6:7], v[0:1], 0.5, v[16:17]
	v_fma_f64 v[0:1], v[0:1], 0.5, -v[16:17]
	v_fma_f64 v[16:17], -v[4:5], v[18:19], v[34:35]
	v_fma_f64 v[2:3], -v[4:5], v[18:19], v[2:3]
	v_lshlrev_b64 v[18:19], 4, v[14:15]
	v_or_b32_e32 v14, 0xa0, v10
	v_fma_f64 v[6:7], v[32:33], v[4:5], v[6:7]
	v_fma_f64 v[0:1], -v[32:33], v[4:5], v[0:1]
	ds_write2_b64 v11, v[6:7], v[16:17] offset1:1
	ds_write_b128 v27, v[0:3] offset:5632
	v_add_co_u32 v16, s0, s1, v18
	ds_read_b128 v[0:3], v26
	ds_read_b128 v[4:7], v27 offset:5120
	v_add_co_ci_u32_e64 v17, s0, s4, v19, s0
	v_add_nc_u32_e32 v11, 0x800, v25
	global_load_dwordx4 v[16:19], v[16:17], off
	s_waitcnt lgkmcnt(0)
	v_add_f64 v[32:33], v[0:1], -v[4:5]
	v_add_f64 v[34:35], v[2:3], v[6:7]
	v_add_f64 v[2:3], v[2:3], -v[6:7]
	v_add_f64 v[0:1], v[0:1], v[4:5]
	v_mul_f64 v[6:7], v[32:33], 0.5
	v_mul_f64 v[32:33], v[34:35], 0.5
	;; [unrolled: 1-line block ×3, first 2 shown]
	s_waitcnt vmcnt(2)
	v_mul_f64 v[4:5], v[6:7], v[30:31]
	v_fma_f64 v[34:35], v[32:33], v[30:31], v[2:3]
	v_fma_f64 v[2:3], v[32:33], v[30:31], -v[2:3]
	v_fma_f64 v[30:31], v[0:1], 0.5, v[4:5]
	v_fma_f64 v[0:1], v[0:1], 0.5, -v[4:5]
	v_fma_f64 v[4:5], -v[28:29], v[6:7], v[34:35]
	v_fma_f64 v[2:3], -v[28:29], v[6:7], v[2:3]
	v_fma_f64 v[6:7], v[32:33], v[28:29], v[30:31]
	v_fma_f64 v[0:1], -v[32:33], v[28:29], v[0:1]
	v_lshlrev_b64 v[28:29], 4, v[14:15]
	ds_write2_b64 v26, v[6:7], v[4:5] offset1:1
	ds_write_b128 v27, v[0:3] offset:5120
	v_add_co_u32 v28, s0, s1, v28
	ds_read_b128 v[0:3], v25 offset:1536
	ds_read_b128 v[4:7], v27 offset:4608
	v_add_co_ci_u32_e64 v29, s0, s4, v29, s0
	global_load_dwordx4 v[28:31], v[28:29], off
	s_waitcnt lgkmcnt(0)
	v_add_f64 v[32:33], v[0:1], -v[4:5]
	v_add_f64 v[34:35], v[2:3], v[6:7]
	v_add_f64 v[2:3], v[2:3], -v[6:7]
	v_add_f64 v[0:1], v[0:1], v[4:5]
	v_mul_f64 v[6:7], v[32:33], 0.5
	v_mul_f64 v[32:33], v[34:35], 0.5
	;; [unrolled: 1-line block ×3, first 2 shown]
	s_waitcnt vmcnt(2)
	v_mul_f64 v[4:5], v[6:7], v[22:23]
	v_fma_f64 v[34:35], v[32:33], v[22:23], v[2:3]
	v_fma_f64 v[2:3], v[32:33], v[22:23], -v[2:3]
	v_fma_f64 v[22:23], v[0:1], 0.5, v[4:5]
	v_fma_f64 v[0:1], v[0:1], 0.5, -v[4:5]
	v_fma_f64 v[4:5], -v[20:21], v[6:7], v[34:35]
	v_fma_f64 v[2:3], -v[20:21], v[6:7], v[2:3]
	v_fma_f64 v[6:7], v[32:33], v[20:21], v[22:23]
	v_fma_f64 v[0:1], -v[32:33], v[20:21], v[0:1]
	ds_write2_b64 v25, v[6:7], v[4:5] offset0:192 offset1:193
	ds_write_b128 v27, v[0:3] offset:4608
	ds_read_b128 v[0:3], v25 offset:2048
	ds_read_b128 v[4:7], v27 offset:4096
	s_waitcnt lgkmcnt(0)
	v_add_f64 v[20:21], v[0:1], -v[4:5]
	v_add_f64 v[22:23], v[2:3], v[6:7]
	v_add_f64 v[2:3], v[2:3], -v[6:7]
	v_add_f64 v[0:1], v[0:1], v[4:5]
	v_mul_f64 v[6:7], v[20:21], 0.5
	v_mul_f64 v[20:21], v[22:23], 0.5
	;; [unrolled: 1-line block ×3, first 2 shown]
	s_waitcnt vmcnt(1)
	v_mul_f64 v[4:5], v[6:7], v[18:19]
	v_fma_f64 v[22:23], v[20:21], v[18:19], v[2:3]
	v_fma_f64 v[2:3], v[20:21], v[18:19], -v[2:3]
	v_fma_f64 v[18:19], v[0:1], 0.5, v[4:5]
	v_fma_f64 v[0:1], v[0:1], 0.5, -v[4:5]
	v_fma_f64 v[4:5], -v[16:17], v[6:7], v[22:23]
	v_fma_f64 v[2:3], -v[16:17], v[6:7], v[2:3]
	v_fma_f64 v[6:7], v[20:21], v[16:17], v[18:19]
	v_fma_f64 v[0:1], -v[20:21], v[16:17], v[0:1]
	ds_write2_b64 v11, v[6:7], v[4:5] offset1:1
	ds_write_b128 v27, v[0:3] offset:4096
	ds_read_b128 v[0:3], v25 offset:2560
	ds_read_b128 v[4:7], v27 offset:3584
	s_waitcnt lgkmcnt(0)
	v_add_f64 v[16:17], v[0:1], -v[4:5]
	v_add_f64 v[18:19], v[2:3], v[6:7]
	v_add_f64 v[2:3], v[2:3], -v[6:7]
	v_add_f64 v[0:1], v[0:1], v[4:5]
	v_mul_f64 v[6:7], v[16:17], 0.5
	v_mul_f64 v[16:17], v[18:19], 0.5
	v_mul_f64 v[2:3], v[2:3], 0.5
	s_waitcnt vmcnt(0)
	v_mul_f64 v[4:5], v[6:7], v[30:31]
	v_fma_f64 v[18:19], v[16:17], v[30:31], v[2:3]
	v_fma_f64 v[2:3], v[16:17], v[30:31], -v[2:3]
	v_fma_f64 v[20:21], v[0:1], 0.5, v[4:5]
	v_fma_f64 v[0:1], v[0:1], 0.5, -v[4:5]
	v_fma_f64 v[4:5], -v[28:29], v[6:7], v[18:19]
	v_fma_f64 v[2:3], -v[28:29], v[6:7], v[2:3]
	v_fma_f64 v[6:7], v[16:17], v[28:29], v[20:21]
	v_fma_f64 v[0:1], -v[16:17], v[28:29], v[0:1]
	ds_write2_b64 v11, v[6:7], v[4:5] offset0:64 offset1:65
	ds_write_b128 v27, v[0:3] offset:3584
	s_waitcnt lgkmcnt(0)
	s_barrier
	buffer_gl0_inv
	s_and_saveexec_b32 s0, vcc_lo
	s_cbranch_execz .LBB0_20
; %bb.18:
	v_mul_lo_u32 v0, s3, v12
	v_mul_lo_u32 v3, s2, v13
	v_mad_u64_u32 v[1:2], null, s2, v12, 0
	v_mov_b32_e32 v11, v15
	v_lshlrev_b64 v[7:8], 4, v[8:9]
	v_add_nc_u32_e32 v14, 32, v10
	v_lshlrev_b64 v[11:12], 4, v[10:11]
	v_add3_u32 v2, v2, v3, v0
	v_lshl_add_u32 v0, v10, 4, v24
	v_lshlrev_b64 v[28:29], 4, v[14:15]
	ds_read_b128 v[3:6], v0
	ds_read_b128 v[16:19], v0 offset:512
	v_lshlrev_b64 v[1:2], 4, v[1:2]
	v_add_nc_u32_e32 v14, 64, v10
	ds_read_b128 v[20:23], v0 offset:1024
	ds_read_b128 v[24:27], v0 offset:1536
	v_add_co_u32 v1, vcc_lo, s10, v1
	v_add_co_ci_u32_e32 v2, vcc_lo, s11, v2, vcc_lo
	v_lshlrev_b64 v[30:31], 4, v[14:15]
	v_add_co_u32 v1, vcc_lo, v1, v7
	v_add_co_ci_u32_e32 v2, vcc_lo, v2, v8, vcc_lo
	v_add_nc_u32_e32 v14, 0x60, v10
	v_add_co_u32 v7, vcc_lo, v1, v11
	v_add_co_ci_u32_e32 v8, vcc_lo, v2, v12, vcc_lo
	v_add_co_u32 v11, vcc_lo, v1, v28
	v_add_co_ci_u32_e32 v12, vcc_lo, v2, v29, vcc_lo
	v_lshlrev_b64 v[28:29], 4, v[14:15]
	v_add_co_u32 v30, vcc_lo, v1, v30
	v_add_co_ci_u32_e32 v31, vcc_lo, v2, v31, vcc_lo
	v_add_nc_u32_e32 v14, 0x80, v10
	v_add_co_u32 v28, vcc_lo, v1, v28
	v_add_co_ci_u32_e32 v29, vcc_lo, v2, v29, vcc_lo
	v_lshlrev_b64 v[32:33], 4, v[14:15]
	v_add_nc_u32_e32 v14, 0xa0, v10
	s_waitcnt lgkmcnt(3)
	global_store_dwordx4 v[7:8], v[3:6], off
	s_waitcnt lgkmcnt(2)
	global_store_dwordx4 v[11:12], v[16:19], off
	;; [unrolled: 2-line block ×4, first 2 shown]
	ds_read_b128 v[3:6], v0 offset:2048
	ds_read_b128 v[16:19], v0 offset:2560
	;; [unrolled: 1-line block ×4, first 2 shown]
	v_lshlrev_b64 v[7:8], 4, v[14:15]
	v_add_nc_u32_e32 v14, 0xc0, v10
	v_add_co_u32 v11, vcc_lo, v1, v32
	v_add_co_ci_u32_e32 v12, vcc_lo, v2, v33, vcc_lo
	v_lshlrev_b64 v[28:29], 4, v[14:15]
	v_add_nc_u32_e32 v14, 0xe0, v10
	v_add_co_u32 v7, vcc_lo, v1, v7
	v_add_co_ci_u32_e32 v8, vcc_lo, v2, v8, vcc_lo
	v_lshlrev_b64 v[30:31], 4, v[14:15]
	v_add_nc_u32_e32 v14, 0x100, v10
	v_add_co_u32 v28, vcc_lo, v1, v28
	s_waitcnt lgkmcnt(3)
	global_store_dwordx4 v[11:12], v[3:6], off
	v_add_co_ci_u32_e32 v29, vcc_lo, v2, v29, vcc_lo
	v_lshlrev_b64 v[3:4], 4, v[14:15]
	v_add_nc_u32_e32 v14, 0x120, v10
	v_add_co_u32 v30, vcc_lo, v1, v30
	v_add_co_ci_u32_e32 v31, vcc_lo, v2, v31, vcc_lo
	v_lshlrev_b64 v[11:12], 4, v[14:15]
	v_add_nc_u32_e32 v14, 0x140, v10
	s_waitcnt lgkmcnt(2)
	global_store_dwordx4 v[7:8], v[16:19], off
	s_waitcnt lgkmcnt(1)
	global_store_dwordx4 v[28:29], v[20:23], off
	;; [unrolled: 2-line block ×3, first 2 shown]
	v_add_co_u32 v7, vcc_lo, v1, v3
	v_add_co_ci_u32_e32 v8, vcc_lo, v2, v4, vcc_lo
	ds_read_b128 v[3:6], v0 offset:4096
	ds_read_b128 v[16:19], v0 offset:4608
	;; [unrolled: 1-line block ×4, first 2 shown]
	v_lshlrev_b64 v[28:29], 4, v[14:15]
	v_add_nc_u32_e32 v14, 0x160, v10
	v_add_co_u32 v11, vcc_lo, v1, v11
	v_add_co_ci_u32_e32 v12, vcc_lo, v2, v12, vcc_lo
	v_lshlrev_b64 v[13:14], 4, v[14:15]
	v_add_co_u32 v28, vcc_lo, v1, v28
	v_add_co_ci_u32_e32 v29, vcc_lo, v2, v29, vcc_lo
	v_add_co_u32 v13, vcc_lo, v1, v13
	v_add_co_ci_u32_e32 v14, vcc_lo, v2, v14, vcc_lo
	v_cmp_eq_u32_e32 vcc_lo, 31, v10
	s_waitcnt lgkmcnt(3)
	global_store_dwordx4 v[7:8], v[3:6], off
	s_waitcnt lgkmcnt(2)
	global_store_dwordx4 v[11:12], v[16:19], off
	;; [unrolled: 2-line block ×4, first 2 shown]
	s_and_b32 exec_lo, exec_lo, vcc_lo
	s_cbranch_execz .LBB0_20
; %bb.19:
	ds_read_b128 v[3:6], v0 offset:5648
	v_add_co_u32 v0, vcc_lo, 0x1800, v1
	v_add_co_ci_u32_e32 v1, vcc_lo, 0, v2, vcc_lo
	s_waitcnt lgkmcnt(0)
	global_store_dwordx4 v[0:1], v[3:6], off
.LBB0_20:
	s_endpgm
	.section	.rodata,"a",@progbits
	.p2align	6, 0x0
	.amdhsa_kernel fft_rtc_fwd_len384_factors_6_4_4_4_wgs_128_tpt_32_halfLds_dp_op_CI_CI_unitstride_sbrr_R2C_dirReg
		.amdhsa_group_segment_fixed_size 0
		.amdhsa_private_segment_fixed_size 0
		.amdhsa_kernarg_size 104
		.amdhsa_user_sgpr_count 6
		.amdhsa_user_sgpr_private_segment_buffer 1
		.amdhsa_user_sgpr_dispatch_ptr 0
		.amdhsa_user_sgpr_queue_ptr 0
		.amdhsa_user_sgpr_kernarg_segment_ptr 1
		.amdhsa_user_sgpr_dispatch_id 0
		.amdhsa_user_sgpr_flat_scratch_init 0
		.amdhsa_user_sgpr_private_segment_size 0
		.amdhsa_wavefront_size32 1
		.amdhsa_uses_dynamic_stack 0
		.amdhsa_system_sgpr_private_segment_wavefront_offset 0
		.amdhsa_system_sgpr_workgroup_id_x 1
		.amdhsa_system_sgpr_workgroup_id_y 0
		.amdhsa_system_sgpr_workgroup_id_z 0
		.amdhsa_system_sgpr_workgroup_info 0
		.amdhsa_system_vgpr_workitem_id 0
		.amdhsa_next_free_vgpr 94
		.amdhsa_next_free_sgpr 27
		.amdhsa_reserve_vcc 1
		.amdhsa_reserve_flat_scratch 0
		.amdhsa_float_round_mode_32 0
		.amdhsa_float_round_mode_16_64 0
		.amdhsa_float_denorm_mode_32 3
		.amdhsa_float_denorm_mode_16_64 3
		.amdhsa_dx10_clamp 1
		.amdhsa_ieee_mode 1
		.amdhsa_fp16_overflow 0
		.amdhsa_workgroup_processor_mode 1
		.amdhsa_memory_ordered 1
		.amdhsa_forward_progress 0
		.amdhsa_shared_vgpr_count 0
		.amdhsa_exception_fp_ieee_invalid_op 0
		.amdhsa_exception_fp_denorm_src 0
		.amdhsa_exception_fp_ieee_div_zero 0
		.amdhsa_exception_fp_ieee_overflow 0
		.amdhsa_exception_fp_ieee_underflow 0
		.amdhsa_exception_fp_ieee_inexact 0
		.amdhsa_exception_int_div_zero 0
	.end_amdhsa_kernel
	.text
.Lfunc_end0:
	.size	fft_rtc_fwd_len384_factors_6_4_4_4_wgs_128_tpt_32_halfLds_dp_op_CI_CI_unitstride_sbrr_R2C_dirReg, .Lfunc_end0-fft_rtc_fwd_len384_factors_6_4_4_4_wgs_128_tpt_32_halfLds_dp_op_CI_CI_unitstride_sbrr_R2C_dirReg
                                        ; -- End function
	.section	.AMDGPU.csdata,"",@progbits
; Kernel info:
; codeLenInByte = 8552
; NumSgprs: 29
; NumVgprs: 94
; ScratchSize: 0
; MemoryBound: 0
; FloatMode: 240
; IeeeMode: 1
; LDSByteSize: 0 bytes/workgroup (compile time only)
; SGPRBlocks: 3
; VGPRBlocks: 11
; NumSGPRsForWavesPerEU: 29
; NumVGPRsForWavesPerEU: 94
; Occupancy: 10
; WaveLimiterHint : 1
; COMPUTE_PGM_RSRC2:SCRATCH_EN: 0
; COMPUTE_PGM_RSRC2:USER_SGPR: 6
; COMPUTE_PGM_RSRC2:TRAP_HANDLER: 0
; COMPUTE_PGM_RSRC2:TGID_X_EN: 1
; COMPUTE_PGM_RSRC2:TGID_Y_EN: 0
; COMPUTE_PGM_RSRC2:TGID_Z_EN: 0
; COMPUTE_PGM_RSRC2:TIDIG_COMP_CNT: 0
	.text
	.p2alignl 6, 3214868480
	.fill 48, 4, 3214868480
	.type	__hip_cuid_d05f50332732b9e3,@object ; @__hip_cuid_d05f50332732b9e3
	.section	.bss,"aw",@nobits
	.globl	__hip_cuid_d05f50332732b9e3
__hip_cuid_d05f50332732b9e3:
	.byte	0                               ; 0x0
	.size	__hip_cuid_d05f50332732b9e3, 1

	.ident	"AMD clang version 19.0.0git (https://github.com/RadeonOpenCompute/llvm-project roc-6.4.0 25133 c7fe45cf4b819c5991fe208aaa96edf142730f1d)"
	.section	".note.GNU-stack","",@progbits
	.addrsig
	.addrsig_sym __hip_cuid_d05f50332732b9e3
	.amdgpu_metadata
---
amdhsa.kernels:
  - .args:
      - .actual_access:  read_only
        .address_space:  global
        .offset:         0
        .size:           8
        .value_kind:     global_buffer
      - .offset:         8
        .size:           8
        .value_kind:     by_value
      - .actual_access:  read_only
        .address_space:  global
        .offset:         16
        .size:           8
        .value_kind:     global_buffer
      - .actual_access:  read_only
        .address_space:  global
        .offset:         24
        .size:           8
        .value_kind:     global_buffer
      - .actual_access:  read_only
        .address_space:  global
        .offset:         32
        .size:           8
        .value_kind:     global_buffer
      - .offset:         40
        .size:           8
        .value_kind:     by_value
      - .actual_access:  read_only
        .address_space:  global
        .offset:         48
        .size:           8
        .value_kind:     global_buffer
      - .actual_access:  read_only
        .address_space:  global
        .offset:         56
        .size:           8
        .value_kind:     global_buffer
      - .offset:         64
        .size:           4
        .value_kind:     by_value
      - .actual_access:  read_only
        .address_space:  global
        .offset:         72
        .size:           8
        .value_kind:     global_buffer
      - .actual_access:  read_only
        .address_space:  global
        .offset:         80
        .size:           8
        .value_kind:     global_buffer
      - .actual_access:  read_only
        .address_space:  global
        .offset:         88
        .size:           8
        .value_kind:     global_buffer
      - .actual_access:  write_only
        .address_space:  global
        .offset:         96
        .size:           8
        .value_kind:     global_buffer
    .group_segment_fixed_size: 0
    .kernarg_segment_align: 8
    .kernarg_segment_size: 104
    .language:       OpenCL C
    .language_version:
      - 2
      - 0
    .max_flat_workgroup_size: 128
    .name:           fft_rtc_fwd_len384_factors_6_4_4_4_wgs_128_tpt_32_halfLds_dp_op_CI_CI_unitstride_sbrr_R2C_dirReg
    .private_segment_fixed_size: 0
    .sgpr_count:     29
    .sgpr_spill_count: 0
    .symbol:         fft_rtc_fwd_len384_factors_6_4_4_4_wgs_128_tpt_32_halfLds_dp_op_CI_CI_unitstride_sbrr_R2C_dirReg.kd
    .uniform_work_group_size: 1
    .uses_dynamic_stack: false
    .vgpr_count:     94
    .vgpr_spill_count: 0
    .wavefront_size: 32
    .workgroup_processor_mode: 1
amdhsa.target:   amdgcn-amd-amdhsa--gfx1030
amdhsa.version:
  - 1
  - 2
...

	.end_amdgpu_metadata
